;; amdgpu-corpus repo=ROCm/rocFFT kind=compiled arch=gfx906 opt=O3
	.text
	.amdgcn_target "amdgcn-amd-amdhsa--gfx906"
	.amdhsa_code_object_version 6
	.protected	fft_rtc_fwd_len528_factors_4_4_3_11_wgs_48_tpt_48_halfLds_sp_op_CI_CI_unitstride_sbrr_R2C_dirReg ; -- Begin function fft_rtc_fwd_len528_factors_4_4_3_11_wgs_48_tpt_48_halfLds_sp_op_CI_CI_unitstride_sbrr_R2C_dirReg
	.globl	fft_rtc_fwd_len528_factors_4_4_3_11_wgs_48_tpt_48_halfLds_sp_op_CI_CI_unitstride_sbrr_R2C_dirReg
	.p2align	8
	.type	fft_rtc_fwd_len528_factors_4_4_3_11_wgs_48_tpt_48_halfLds_sp_op_CI_CI_unitstride_sbrr_R2C_dirReg,@function
fft_rtc_fwd_len528_factors_4_4_3_11_wgs_48_tpt_48_halfLds_sp_op_CI_CI_unitstride_sbrr_R2C_dirReg: ; @fft_rtc_fwd_len528_factors_4_4_3_11_wgs_48_tpt_48_halfLds_sp_op_CI_CI_unitstride_sbrr_R2C_dirReg
; %bb.0:
	s_load_dwordx4 s[8:11], s[4:5], 0x58
	s_load_dwordx4 s[12:15], s[4:5], 0x0
	;; [unrolled: 1-line block ×3, first 2 shown]
	v_mul_u32_u24_e32 v1, 0x556, v0
	v_add_u32_sdwa v5, s6, v1 dst_sel:DWORD dst_unused:UNUSED_PAD src0_sel:DWORD src1_sel:WORD_1
	v_mov_b32_e32 v3, 0
	s_waitcnt lgkmcnt(0)
	v_cmp_lt_u64_e64 s[0:1], s[14:15], 2
	v_mov_b32_e32 v1, 0
	v_mov_b32_e32 v6, v3
	s_and_b64 vcc, exec, s[0:1]
	v_mov_b32_e32 v2, 0
	s_cbranch_vccnz .LBB0_8
; %bb.1:
	s_load_dwordx2 s[0:1], s[4:5], 0x10
	s_add_u32 s2, s18, 8
	s_addc_u32 s3, s19, 0
	s_add_u32 s6, s16, 8
	v_mov_b32_e32 v1, 0
	s_addc_u32 s7, s17, 0
	v_mov_b32_e32 v2, 0
	s_waitcnt lgkmcnt(0)
	s_add_u32 s20, s0, 8
	v_mov_b32_e32 v21, v2
	s_addc_u32 s21, s1, 0
	s_mov_b64 s[22:23], 1
	v_mov_b32_e32 v20, v1
.LBB0_2:                                ; =>This Inner Loop Header: Depth=1
	s_load_dwordx2 s[24:25], s[20:21], 0x0
                                        ; implicit-def: $vgpr22_vgpr23
	s_waitcnt lgkmcnt(0)
	v_or_b32_e32 v4, s25, v6
	v_cmp_ne_u64_e32 vcc, 0, v[3:4]
	s_and_saveexec_b64 s[0:1], vcc
	s_xor_b64 s[26:27], exec, s[0:1]
	s_cbranch_execz .LBB0_4
; %bb.3:                                ;   in Loop: Header=BB0_2 Depth=1
	v_cvt_f32_u32_e32 v4, s24
	v_cvt_f32_u32_e32 v7, s25
	s_sub_u32 s0, 0, s24
	s_subb_u32 s1, 0, s25
	v_mac_f32_e32 v4, 0x4f800000, v7
	v_rcp_f32_e32 v4, v4
	v_mul_f32_e32 v4, 0x5f7ffffc, v4
	v_mul_f32_e32 v7, 0x2f800000, v4
	v_trunc_f32_e32 v7, v7
	v_mac_f32_e32 v4, 0xcf800000, v7
	v_cvt_u32_f32_e32 v7, v7
	v_cvt_u32_f32_e32 v4, v4
	v_mul_lo_u32 v8, s0, v7
	v_mul_hi_u32 v9, s0, v4
	v_mul_lo_u32 v11, s1, v4
	v_mul_lo_u32 v10, s0, v4
	v_add_u32_e32 v8, v9, v8
	v_add_u32_e32 v8, v8, v11
	v_mul_hi_u32 v9, v4, v10
	v_mul_lo_u32 v11, v4, v8
	v_mul_hi_u32 v13, v4, v8
	v_mul_hi_u32 v12, v7, v10
	v_mul_lo_u32 v10, v7, v10
	v_mul_hi_u32 v14, v7, v8
	v_add_co_u32_e32 v9, vcc, v9, v11
	v_addc_co_u32_e32 v11, vcc, 0, v13, vcc
	v_mul_lo_u32 v8, v7, v8
	v_add_co_u32_e32 v9, vcc, v9, v10
	v_addc_co_u32_e32 v9, vcc, v11, v12, vcc
	v_addc_co_u32_e32 v10, vcc, 0, v14, vcc
	v_add_co_u32_e32 v8, vcc, v9, v8
	v_addc_co_u32_e32 v9, vcc, 0, v10, vcc
	v_add_co_u32_e32 v4, vcc, v4, v8
	v_addc_co_u32_e32 v7, vcc, v7, v9, vcc
	v_mul_lo_u32 v8, s0, v7
	v_mul_hi_u32 v9, s0, v4
	v_mul_lo_u32 v10, s1, v4
	v_mul_lo_u32 v11, s0, v4
	v_add_u32_e32 v8, v9, v8
	v_add_u32_e32 v8, v8, v10
	v_mul_lo_u32 v12, v4, v8
	v_mul_hi_u32 v13, v4, v11
	v_mul_hi_u32 v14, v4, v8
	v_mul_hi_u32 v10, v7, v11
	v_mul_lo_u32 v11, v7, v11
	v_mul_hi_u32 v9, v7, v8
	v_add_co_u32_e32 v12, vcc, v13, v12
	v_addc_co_u32_e32 v13, vcc, 0, v14, vcc
	v_mul_lo_u32 v8, v7, v8
	v_add_co_u32_e32 v11, vcc, v12, v11
	v_addc_co_u32_e32 v10, vcc, v13, v10, vcc
	v_addc_co_u32_e32 v9, vcc, 0, v9, vcc
	v_add_co_u32_e32 v8, vcc, v10, v8
	v_addc_co_u32_e32 v9, vcc, 0, v9, vcc
	v_add_co_u32_e32 v4, vcc, v4, v8
	v_addc_co_u32_e32 v9, vcc, v7, v9, vcc
	v_mad_u64_u32 v[7:8], s[0:1], v5, v9, 0
	v_mul_hi_u32 v10, v5, v4
	v_add_co_u32_e32 v11, vcc, v10, v7
	v_addc_co_u32_e32 v12, vcc, 0, v8, vcc
	v_mad_u64_u32 v[7:8], s[0:1], v6, v4, 0
	v_mad_u64_u32 v[9:10], s[0:1], v6, v9, 0
	v_add_co_u32_e32 v4, vcc, v11, v7
	v_addc_co_u32_e32 v4, vcc, v12, v8, vcc
	v_addc_co_u32_e32 v7, vcc, 0, v10, vcc
	v_add_co_u32_e32 v4, vcc, v4, v9
	v_addc_co_u32_e32 v9, vcc, 0, v7, vcc
	v_mul_lo_u32 v10, s25, v4
	v_mul_lo_u32 v11, s24, v9
	v_mad_u64_u32 v[7:8], s[0:1], s24, v4, 0
	v_add3_u32 v8, v8, v11, v10
	v_sub_u32_e32 v10, v6, v8
	v_mov_b32_e32 v11, s25
	v_sub_co_u32_e32 v7, vcc, v5, v7
	v_subb_co_u32_e64 v10, s[0:1], v10, v11, vcc
	v_subrev_co_u32_e64 v11, s[0:1], s24, v7
	v_subbrev_co_u32_e64 v10, s[0:1], 0, v10, s[0:1]
	v_cmp_le_u32_e64 s[0:1], s25, v10
	v_cndmask_b32_e64 v12, 0, -1, s[0:1]
	v_cmp_le_u32_e64 s[0:1], s24, v11
	v_cndmask_b32_e64 v11, 0, -1, s[0:1]
	v_cmp_eq_u32_e64 s[0:1], s25, v10
	v_cndmask_b32_e64 v10, v12, v11, s[0:1]
	v_add_co_u32_e64 v11, s[0:1], 2, v4
	v_addc_co_u32_e64 v12, s[0:1], 0, v9, s[0:1]
	v_add_co_u32_e64 v13, s[0:1], 1, v4
	v_addc_co_u32_e64 v14, s[0:1], 0, v9, s[0:1]
	v_subb_co_u32_e32 v8, vcc, v6, v8, vcc
	v_cmp_ne_u32_e64 s[0:1], 0, v10
	v_cmp_le_u32_e32 vcc, s25, v8
	v_cndmask_b32_e64 v10, v14, v12, s[0:1]
	v_cndmask_b32_e64 v12, 0, -1, vcc
	v_cmp_le_u32_e32 vcc, s24, v7
	v_cndmask_b32_e64 v7, 0, -1, vcc
	v_cmp_eq_u32_e32 vcc, s25, v8
	v_cndmask_b32_e32 v7, v12, v7, vcc
	v_cmp_ne_u32_e32 vcc, 0, v7
	v_cndmask_b32_e64 v7, v13, v11, s[0:1]
	v_cndmask_b32_e32 v23, v9, v10, vcc
	v_cndmask_b32_e32 v22, v4, v7, vcc
.LBB0_4:                                ;   in Loop: Header=BB0_2 Depth=1
	s_andn2_saveexec_b64 s[0:1], s[26:27]
	s_cbranch_execz .LBB0_6
; %bb.5:                                ;   in Loop: Header=BB0_2 Depth=1
	v_cvt_f32_u32_e32 v4, s24
	s_sub_i32 s26, 0, s24
	v_mov_b32_e32 v23, v3
	v_rcp_iflag_f32_e32 v4, v4
	v_mul_f32_e32 v4, 0x4f7ffffe, v4
	v_cvt_u32_f32_e32 v4, v4
	v_mul_lo_u32 v7, s26, v4
	v_mul_hi_u32 v7, v4, v7
	v_add_u32_e32 v4, v4, v7
	v_mul_hi_u32 v4, v5, v4
	v_mul_lo_u32 v7, v4, s24
	v_add_u32_e32 v8, 1, v4
	v_sub_u32_e32 v7, v5, v7
	v_subrev_u32_e32 v9, s24, v7
	v_cmp_le_u32_e32 vcc, s24, v7
	v_cndmask_b32_e32 v7, v7, v9, vcc
	v_cndmask_b32_e32 v4, v4, v8, vcc
	v_add_u32_e32 v8, 1, v4
	v_cmp_le_u32_e32 vcc, s24, v7
	v_cndmask_b32_e32 v22, v4, v8, vcc
.LBB0_6:                                ;   in Loop: Header=BB0_2 Depth=1
	s_or_b64 exec, exec, s[0:1]
	v_mul_lo_u32 v4, v23, s24
	v_mul_lo_u32 v9, v22, s25
	v_mad_u64_u32 v[7:8], s[0:1], v22, s24, 0
	s_load_dwordx2 s[0:1], s[6:7], 0x0
	s_load_dwordx2 s[24:25], s[2:3], 0x0
	v_add3_u32 v4, v8, v9, v4
	v_sub_co_u32_e32 v5, vcc, v5, v7
	v_subb_co_u32_e32 v4, vcc, v6, v4, vcc
	s_waitcnt lgkmcnt(0)
	v_mul_lo_u32 v6, s0, v4
	v_mul_lo_u32 v7, s1, v5
	v_mad_u64_u32 v[1:2], s[0:1], s0, v5, v[1:2]
	v_mul_lo_u32 v4, s24, v4
	v_mul_lo_u32 v8, s25, v5
	v_mad_u64_u32 v[20:21], s[0:1], s24, v5, v[20:21]
	s_add_u32 s22, s22, 1
	s_addc_u32 s23, s23, 0
	s_add_u32 s2, s2, 8
	v_add3_u32 v21, v8, v21, v4
	s_addc_u32 s3, s3, 0
	v_mov_b32_e32 v4, s14
	s_add_u32 s6, s6, 8
	v_mov_b32_e32 v5, s15
	s_addc_u32 s7, s7, 0
	v_cmp_ge_u64_e32 vcc, s[22:23], v[4:5]
	s_add_u32 s20, s20, 8
	v_add3_u32 v2, v7, v2, v6
	s_addc_u32 s21, s21, 0
	s_cbranch_vccnz .LBB0_9
; %bb.7:                                ;   in Loop: Header=BB0_2 Depth=1
	v_mov_b32_e32 v5, v22
	v_mov_b32_e32 v6, v23
	s_branch .LBB0_2
.LBB0_8:
	v_mov_b32_e32 v21, v2
	v_mov_b32_e32 v23, v6
	;; [unrolled: 1-line block ×4, first 2 shown]
.LBB0_9:
	s_load_dwordx2 s[0:1], s[4:5], 0x28
	s_lshl_b64 s[6:7], s[14:15], 3
	s_add_u32 s2, s18, s6
	s_addc_u32 s3, s19, s7
                                        ; implicit-def: $vgpr24
                                        ; implicit-def: $vgpr26
                                        ; implicit-def: $vgpr28
	s_waitcnt lgkmcnt(0)
	v_cmp_gt_u64_e32 vcc, s[0:1], v[22:23]
	v_cmp_le_u64_e64 s[0:1], s[0:1], v[22:23]
	s_and_saveexec_b64 s[4:5], s[0:1]
	s_xor_b64 s[0:1], exec, s[4:5]
; %bb.10:
	s_mov_b32 s4, 0x5555556
	v_mul_hi_u32 v1, v0, s4
	v_mul_u32_u24_e32 v1, 48, v1
	v_sub_u32_e32 v24, v0, v1
	v_add_u32_e32 v26, 48, v24
	v_add_u32_e32 v28, 0x60, v24
                                        ; implicit-def: $vgpr0
                                        ; implicit-def: $vgpr1_vgpr2
; %bb.11:
	s_andn2_saveexec_b64 s[4:5], s[0:1]
	s_cbranch_execz .LBB0_13
; %bb.12:
	s_add_u32 s0, s16, s6
	s_addc_u32 s1, s17, s7
	s_load_dwordx2 s[0:1], s[0:1], 0x0
	s_mov_b32 s6, 0x5555556
	v_mul_hi_u32 v5, v0, s6
	s_waitcnt lgkmcnt(0)
	v_mul_lo_u32 v6, s1, v22
	v_mul_lo_u32 v7, s0, v23
	v_mad_u64_u32 v[3:4], s[0:1], s0, v22, 0
	v_mul_u32_u24_e32 v5, 48, v5
	v_sub_u32_e32 v24, v0, v5
	v_add3_u32 v4, v4, v7, v6
	v_lshlrev_b64 v[3:4], 3, v[3:4]
	v_mov_b32_e32 v0, s9
	v_add_co_u32_e64 v3, s[0:1], s8, v3
	v_addc_co_u32_e64 v4, s[0:1], v0, v4, s[0:1]
	v_lshlrev_b64 v[0:1], 3, v[1:2]
	v_lshlrev_b32_e32 v25, 3, v24
	v_add_co_u32_e64 v0, s[0:1], v3, v0
	v_addc_co_u32_e64 v1, s[0:1], v4, v1, s[0:1]
	v_add_co_u32_e64 v0, s[0:1], v0, v25
	v_addc_co_u32_e64 v1, s[0:1], 0, v1, s[0:1]
	global_load_dwordx2 v[2:3], v[0:1], off
	global_load_dwordx2 v[4:5], v[0:1], off offset:384
	global_load_dwordx2 v[6:7], v[0:1], off offset:768
	;; [unrolled: 1-line block ×10, first 2 shown]
	v_add_u32_e32 v26, 48, v24
	v_add_u32_e32 v28, 0x60, v24
	v_add_u32_e32 v0, 0, v25
	v_add_u32_e32 v1, 0x800, v0
	s_waitcnt vmcnt(9)
	ds_write2_b64 v0, v[2:3], v[4:5] offset1:48
	s_waitcnt vmcnt(7)
	ds_write2_b64 v0, v[6:7], v[8:9] offset0:96 offset1:144
	s_waitcnt vmcnt(5)
	ds_write2_b64 v0, v[10:11], v[12:13] offset0:192 offset1:240
	;; [unrolled: 2-line block ×4, first 2 shown]
	s_waitcnt vmcnt(0)
	ds_write_b64 v0, v[31:32] offset:3840
.LBB0_13:
	s_or_b64 exec, exec, s[4:5]
	v_lshl_add_u32 v37, v24, 3, 0
	v_add_u32_e32 v4, 0x800, v37
	s_load_dwordx2 s[2:3], s[2:3], 0x0
	s_waitcnt lgkmcnt(0)
	; wave barrier
	s_waitcnt lgkmcnt(0)
	ds_read2_b64 v[0:3], v37 offset1:48
	ds_read2_b64 v[5:8], v4 offset0:8 offset1:56
	ds_read2_b64 v[9:12], v37 offset0:96 offset1:132
	;; [unrolled: 1-line block ×3, first 2 shown]
	v_mad_u32_u24 v19, v24, 24, v37
	v_lshl_add_u32 v25, v26, 5, 0
	v_cmp_gt_u32_e64 s[0:1], 36, v24
	s_waitcnt lgkmcnt(2)
	v_sub_f32_e32 v17, v0, v5
	v_sub_f32_e32 v18, v1, v6
	s_waitcnt lgkmcnt(0)
	v_sub_f32_e32 v15, v11, v15
	v_sub_f32_e32 v16, v12, v16
	v_fma_f32 v5, v0, 2.0, -v17
	v_fma_f32 v6, v1, 2.0, -v18
	;; [unrolled: 1-line block ×4, first 2 shown]
	v_sub_f32_e32 v11, v17, v16
	v_add_f32_e32 v12, v18, v15
	v_fma_f32 v33, v17, 2.0, -v11
	v_fma_f32 v34, v18, 2.0, -v12
	ds_read2_b64 v[15:18], v37 offset0:180 offset1:228
	ds_read2_b64 v[29:32], v4 offset0:188 offset1:236
	v_sub_f32_e32 v0, v5, v0
	v_sub_f32_e32 v1, v6, v1
	v_fma_f32 v5, v5, 2.0, -v0
	v_fma_f32 v6, v6, 2.0, -v1
	s_waitcnt lgkmcnt(0)
	; wave barrier
	s_waitcnt lgkmcnt(0)
	ds_write2_b64 v19, v[5:6], v[33:34] offset1:1
	ds_write2_b64 v19, v[0:1], v[11:12] offset0:2 offset1:3
	v_sub_f32_e32 v7, v2, v7
	v_sub_f32_e32 v8, v3, v8
	;; [unrolled: 1-line block ×4, first 2 shown]
	v_fma_f32 v2, v2, 2.0, -v7
	v_fma_f32 v3, v3, 2.0, -v8
	;; [unrolled: 1-line block ×4, first 2 shown]
	v_sub_f32_e32 v0, v2, v0
	v_sub_f32_e32 v1, v3, v1
	;; [unrolled: 1-line block ×3, first 2 shown]
	v_add_f32_e32 v6, v8, v6
	v_fma_f32 v2, v2, 2.0, -v0
	v_fma_f32 v3, v3, 2.0, -v1
	;; [unrolled: 1-line block ×4, first 2 shown]
	ds_write2_b64 v25, v[2:3], v[7:8] offset1:1
	v_sub_f32_e32 v2, v9, v13
	v_sub_f32_e32 v3, v10, v14
	v_fma_f32 v7, v9, 2.0, -v2
	v_fma_f32 v8, v10, 2.0, -v3
	v_sub_f32_e32 v9, v17, v31
	v_sub_f32_e32 v10, v18, v32
	v_fma_f32 v11, v17, 2.0, -v9
	v_fma_f32 v12, v18, 2.0, -v10
	v_sub_f32_e32 v18, v7, v11
	v_sub_f32_e32 v19, v8, v12
	;; [unrolled: 1-line block ×3, first 2 shown]
	v_add_f32_e32 v15, v3, v9
	v_fma_f32 v12, v7, 2.0, -v18
	v_fma_f32 v13, v8, 2.0, -v19
	;; [unrolled: 1-line block ×4, first 2 shown]
	ds_write2_b64 v25, v[0:1], v[5:6] offset0:2 offset1:3
	s_and_saveexec_b64 s[4:5], s[0:1]
	s_cbranch_execz .LBB0_15
; %bb.14:
	v_lshl_add_u32 v0, v28, 5, 0
	ds_write2_b64 v0, v[12:13], v[29:30] offset1:1
	ds_write2_b64 v0, v[18:19], v[14:15] offset0:2 offset1:3
.LBB0_15:
	s_or_b64 exec, exec, s[4:5]
	s_movk_i32 s4, 0xffe8
	v_add_u32_e32 v33, 0x400, v37
	v_mad_i32_i24 v16, v26, s4, v25
	s_waitcnt lgkmcnt(0)
	; wave barrier
	s_waitcnt lgkmcnt(0)
	ds_read2_b64 v[0:3], v37 offset1:132
	ds_read2_b64 v[8:11], v33 offset0:52 offset1:136
	ds_read2_b64 v[4:7], v4 offset0:56 offset1:140
	ds_read_b64 v[16:17], v16
	ds_read_b64 v[31:32], v37 offset:3552
	v_lshlrev_b32_e32 v27, 2, v26
	v_lshl_add_u32 v38, v28, 3, 0
	s_and_saveexec_b64 s[4:5], s[0:1]
	s_cbranch_execz .LBB0_17
; %bb.16:
	ds_read2_b64 v[33:36], v33 offset0:100 offset1:232
	ds_read_b64 v[12:13], v38
	ds_read_b64 v[14:15], v37 offset:3936
	s_waitcnt lgkmcnt(2)
	v_mov_b32_e32 v19, v36
	v_mov_b32_e32 v18, v35
	;; [unrolled: 1-line block ×4, first 2 shown]
.LBB0_17:
	s_or_b64 exec, exec, s[4:5]
	v_and_b32_e32 v33, 3, v24
	v_mul_u32_u24_e32 v34, 3, v33
	v_lshlrev_b32_e32 v34, 3, v34
	global_load_dwordx4 v[39:42], v34, s[12:13]
	global_load_dwordx2 v[35:36], v34, s[12:13] offset:16
	v_lshlrev_b32_e32 v43, 2, v24
	s_movk_i32 s4, 0xf0
	s_waitcnt lgkmcnt(0)
	; wave barrier
	s_waitcnt lgkmcnt(0)
	v_mul_i32_i24_e32 v34, 0xffffffe8, v26
	s_waitcnt vmcnt(1)
	v_mul_f32_e32 v45, v42, v10
	v_mul_f32_e32 v46, v40, v9
	v_mul_f32_e32 v47, v40, v8
	v_mul_f32_e32 v48, v30, v40
	v_mul_f32_e32 v49, v29, v40
	v_mul_f32_e32 v52, v40, v3
	v_mul_f32_e32 v40, v40, v2
	s_waitcnt vmcnt(0)
	v_mul_f32_e32 v55, v36, v6
	v_mul_f32_e32 v44, v42, v11
	v_mul_f32_e32 v50, v19, v42
	v_mul_f32_e32 v53, v42, v5
	v_mul_f32_e32 v54, v36, v7
	v_mul_f32_e32 v56, v36, v32
	v_mul_f32_e32 v57, v36, v31
	v_mul_f32_e32 v58, v15, v36
	v_mul_f32_e32 v36, v14, v36
	v_fmac_f32_e32 v45, v41, v11
	v_fmac_f32_e32 v40, v39, v3
	v_fmac_f32_e32 v55, v35, v7
	v_mul_f32_e32 v51, v18, v42
	v_mul_f32_e32 v42, v42, v4
	v_fma_f32 v10, v41, v10, -v44
	v_fmac_f32_e32 v47, v39, v9
	v_fma_f32 v11, v29, v39, -v48
	v_fmac_f32_e32 v49, v30, v39
	v_fma_f32 v9, v18, v41, -v50
	v_fma_f32 v2, v39, v2, -v52
	;; [unrolled: 1-line block ×5, first 2 shown]
	v_fmac_f32_e32 v36, v15, v35
	v_sub_f32_e32 v15, v1, v45
	v_sub_f32_e32 v7, v40, v55
	v_fma_f32 v8, v39, v8, -v46
	v_fmac_f32_e32 v51, v19, v41
	v_fmac_f32_e32 v42, v41, v5
	v_fma_f32 v5, v35, v31, -v56
	v_fmac_f32_e32 v57, v35, v32
	v_sub_f32_e32 v14, v0, v10
	v_sub_f32_e32 v4, v2, v4
	;; [unrolled: 1-line block ×5, first 2 shown]
	v_fma_f32 v35, v1, 2.0, -v15
	v_fma_f32 v1, v40, 2.0, -v7
	v_sub_f32_e32 v3, v16, v3
	v_sub_f32_e32 v18, v17, v42
	;; [unrolled: 1-line block ×4, first 2 shown]
	v_fma_f32 v32, v0, 2.0, -v14
	v_fma_f32 v0, v2, 2.0, -v4
	;; [unrolled: 1-line block ×4, first 2 shown]
	v_sub_f32_e32 v29, v19, v29
	v_sub_f32_e32 v11, v35, v1
	;; [unrolled: 1-line block ×4, first 2 shown]
	v_add_f32_e32 v7, v15, v4
	v_fma_f32 v36, v16, 2.0, -v3
	v_fma_f32 v2, v8, 2.0, -v5
	v_fma_f32 v16, v47, 2.0, -v10
	v_sub_f32_e32 v8, v3, v10
	v_add_f32_e32 v9, v18, v5
	v_fma_f32 v4, v12, 2.0, -v19
	v_sub_f32_e32 v10, v32, v0
	v_fma_f32 v0, v19, 2.0, -v29
	v_fma_f32 v19, v35, 2.0, -v11
	v_and_or_b32 v35, v43, s4, v33
	v_fma_f32 v39, v17, 2.0, -v18
	v_fma_f32 v5, v13, 2.0, -v31
	;; [unrolled: 1-line block ×6, first 2 shown]
	v_lshl_add_u32 v35, v35, 3, 0
	s_movk_i32 s4, 0x1f0
	v_add_f32_e32 v30, v31, v30
	v_sub_f32_e32 v14, v36, v2
	v_sub_f32_e32 v15, v39, v16
	ds_write2_b64 v35, v[18:19], v[12:13] offset1:4
	ds_write2_b64 v35, v[10:11], v[6:7] offset0:8 offset1:12
	v_and_or_b32 v6, v27, s4, v33
	v_fma_f32 v16, v3, 2.0, -v8
	v_sub_f32_e32 v2, v4, v40
	v_sub_f32_e32 v3, v5, v41
	v_fma_f32 v1, v31, 2.0, -v30
	v_fma_f32 v31, v36, 2.0, -v14
	v_fma_f32 v32, v39, 2.0, -v15
	v_lshl_add_u32 v6, v6, 3, 0
	ds_write2_b64 v6, v[31:32], v[16:17] offset1:4
	ds_write2_b64 v6, v[14:15], v[8:9] offset0:8 offset1:12
	s_and_saveexec_b64 s[4:5], s[0:1]
	s_cbranch_execz .LBB0_19
; %bb.18:
	v_lshlrev_b32_e32 v6, 2, v28
	s_movk_i32 s0, 0x3f0
	v_and_or_b32 v6, v6, s0, v33
	v_fma_f32 v5, v5, 2.0, -v3
	v_fma_f32 v4, v4, 2.0, -v2
	v_lshl_add_u32 v6, v6, 3, 0
	ds_write2_b64 v6, v[4:5], v[0:1] offset1:4
	ds_write2_b64 v6, v[2:3], v[29:30] offset0:8 offset1:12
.LBB0_19:
	s_or_b64 exec, exec, s[4:5]
	v_add_u32_e32 v4, 0x800, v37
	s_waitcnt lgkmcnt(0)
	; wave barrier
	s_waitcnt lgkmcnt(0)
	ds_read2_b64 v[12:15], v4 offset0:96 offset1:144
	v_add_u32_e32 v4, 0x400, v37
	ds_read2_b64 v[8:11], v37 offset1:176
	v_add_u32_e32 v39, v25, v34
	ds_read2_b64 v[16:19], v4 offset0:96 offset1:144
	ds_read_b64 v[31:32], v38
	ds_read_b64 v[33:34], v39
	ds_read_b64 v[35:36], v37 offset:3584
	v_cmp_gt_u32_e64 s[0:1], 32, v24
	s_and_saveexec_b64 s[4:5], s[0:1]
	s_cbranch_execz .LBB0_21
; %bb.20:
	ds_read2_b64 v[0:3], v4 offset0:16 offset1:192
	ds_read_b64 v[29:30], v37 offset:3968
.LBB0_21:
	s_or_b64 exec, exec, s[4:5]
	v_and_b32_e32 v25, 15, v24
	v_lshlrev_b32_e32 v4, 4, v25
	global_load_dwordx4 v[4:7], v4, s[12:13] offset:96
	v_lshrrev_b32_e32 v40, 4, v26
	v_lshrrev_b32_e32 v41, 4, v28
	v_mul_lo_u32 v40, v40, 48
	v_lshrrev_b32_e32 v27, 4, v24
	v_mul_lo_u32 v41, v41, 48
	v_mul_u32_u24_e32 v27, 48, v27
	v_or_b32_e32 v27, v27, v25
	v_lshl_add_u32 v27, v27, 3, 0
	v_or_b32_e32 v40, v40, v25
	s_waitcnt lgkmcnt(0)
	; wave barrier
	s_waitcnt lgkmcnt(0)
	v_lshl_add_u32 v40, v40, 3, 0
	s_waitcnt vmcnt(0)
	v_mul_f32_e32 v42, v5, v11
	v_mul_f32_e32 v43, v7, v13
	v_mul_f32_e32 v44, v7, v12
	v_mul_f32_e32 v45, v7, v15
	v_mul_f32_e32 v46, v7, v14
	v_mul_f32_e32 v47, v5, v17
	v_mul_f32_e32 v48, v5, v16
	v_mul_f32_e32 v51, v5, v10
	v_mul_f32_e32 v49, v5, v19
	v_mul_f32_e32 v50, v5, v18
	v_mul_f32_e32 v52, v7, v36
	v_mul_f32_e32 v53, v7, v35
	v_fma_f32 v12, v6, v12, -v43
	v_fmac_f32_e32 v44, v6, v13
	v_fma_f32 v13, v6, v14, -v45
	v_fmac_f32_e32 v46, v6, v15
	;; [unrolled: 2-line block ×6, first 2 shown]
	v_add_f32_e32 v11, v10, v12
	v_add_f32_e32 v17, v51, v44
	;; [unrolled: 1-line block ×3, first 2 shown]
	v_sub_f32_e32 v45, v48, v46
	v_add_f32_e32 v47, v34, v48
	v_add_f32_e32 v48, v48, v46
	;; [unrolled: 1-line block ×4, first 2 shown]
	v_sub_f32_e32 v42, v51, v44
	v_sub_f32_e32 v43, v10, v12
	v_add_f32_e32 v35, v33, v14
	v_sub_f32_e32 v49, v14, v13
	v_add_f32_e32 v14, v31, v15
	v_add_f32_e32 v51, v15, v16
	v_sub_f32_e32 v52, v50, v53
	v_add_f32_e32 v54, v32, v50
	v_add_f32_e32 v50, v50, v53
	v_fma_f32 v8, -0.5, v11, v8
	v_fma_f32 v9, -0.5, v17, v9
	;; [unrolled: 1-line block ×3, first 2 shown]
	v_fmac_f32_e32 v34, -0.5, v48
	v_sub_f32_e32 v55, v15, v16
	v_add_f32_e32 v10, v18, v12
	v_add_f32_e32 v11, v19, v44
	;; [unrolled: 1-line block ×3, first 2 shown]
	v_fma_f32 v31, -0.5, v51, v31
	v_fmac_f32_e32 v32, -0.5, v50
	v_mov_b32_e32 v16, v8
	v_fmac_f32_e32 v8, 0xbf5db3d7, v42
	v_mov_b32_e32 v17, v9
	v_fmac_f32_e32 v9, 0x3f5db3d7, v43
	v_mov_b32_e32 v18, v33
	v_mov_b32_e32 v19, v34
	v_add_f32_e32 v12, v35, v13
	v_add_f32_e32 v13, v47, v46
	v_fmac_f32_e32 v33, 0xbf5db3d7, v45
	v_fmac_f32_e32 v34, 0x3f5db3d7, v49
	v_mov_b32_e32 v35, v31
	v_mov_b32_e32 v36, v32
	v_fmac_f32_e32 v16, 0x3f5db3d7, v42
	v_fmac_f32_e32 v17, 0xbf5db3d7, v43
	;; [unrolled: 1-line block ×4, first 2 shown]
	ds_write_b64 v27, v[8:9] offset:256
	ds_write2_b64 v27, v[10:11], v[16:17] offset1:16
	ds_write2_b64 v40, v[12:13], v[18:19] offset1:16
	ds_write_b64 v40, v[33:34] offset:256
	v_or_b32_e32 v8, v41, v25
	v_add_f32_e32 v15, v54, v53
	v_fmac_f32_e32 v35, 0x3f5db3d7, v52
	v_fmac_f32_e32 v36, 0xbf5db3d7, v55
	v_lshl_add_u32 v8, v8, 3, 0
	v_fmac_f32_e32 v31, 0xbf5db3d7, v52
	v_fmac_f32_e32 v32, 0x3f5db3d7, v55
	ds_write2_b64 v8, v[14:15], v[35:36] offset1:16
	ds_write_b64 v8, v[31:32] offset:256
	s_and_saveexec_b64 s[4:5], s[0:1]
	s_cbranch_execz .LBB0_23
; %bb.22:
	v_mul_f32_e32 v10, v2, v5
	v_fmac_f32_e32 v10, v3, v4
	v_mul_f32_e32 v3, v3, v5
	v_fma_f32 v4, v2, v4, -v3
	v_mul_f32_e32 v2, v30, v7
	v_mul_f32_e32 v11, v29, v7
	v_fma_f32 v5, v29, v6, -v2
	v_add_u32_e32 v9, 0x90, v24
	v_fmac_f32_e32 v11, v30, v6
	v_add_f32_e32 v2, v4, v5
	v_add_f32_e32 v8, v10, v11
	v_sub_f32_e32 v6, v4, v5
	v_fma_f32 v7, -0.5, v2, v0
	v_add_f32_e32 v0, v0, v4
	v_lshrrev_b32_e32 v4, 4, v9
	v_fma_f32 v8, -0.5, v8, v1
	v_mul_u32_u24_e32 v4, 48, v4
	v_mov_b32_e32 v3, v8
	v_sub_f32_e32 v12, v10, v11
	v_mov_b32_e32 v2, v7
	v_add_f32_e32 v1, v1, v10
	v_or_b32_e32 v4, v4, v25
	v_fmac_f32_e32 v3, 0xbf5db3d7, v6
	v_fmac_f32_e32 v2, 0x3f5db3d7, v12
	v_add_f32_e32 v1, v1, v11
	v_add_f32_e32 v0, v0, v5
	v_lshl_add_u32 v4, v4, 3, 0
	v_fmac_f32_e32 v8, 0x3f5db3d7, v6
	v_fmac_f32_e32 v7, 0xbf5db3d7, v12
	ds_write2_b64 v4, v[0:1], v[2:3] offset1:16
	ds_write_b64 v4, v[7:8] offset:256
.LBB0_23:
	s_or_b64 exec, exec, s[4:5]
	v_mul_u32_u24_e32 v0, 10, v24
	v_lshlrev_b32_e32 v0, 3, v0
	s_waitcnt lgkmcnt(0)
	; wave barrier
	s_waitcnt lgkmcnt(0)
	global_load_dwordx4 v[3:6], v0, s[12:13] offset:352
	global_load_dwordx4 v[7:10], v0, s[12:13] offset:368
	;; [unrolled: 1-line block ×5, first 2 shown]
	v_add_u32_e32 v0, 0x800, v37
	ds_read2_b64 v[33:36], v37 offset1:144
	ds_read_b64 v[52:53], v38
	ds_read2_b64 v[40:43], v37 offset0:192 offset1:240
	ds_read_b64 v[54:55], v39
	ds_read_b64 v[56:57], v37 offset:3840
	ds_read2_b64 v[44:47], v0 offset0:32 offset1:80
	ds_read2_b64 v[48:51], v0 offset0:128 offset1:176
	s_mov_b32 s6, 0xbf75a155
	s_mov_b32 s0, 0x3f575c64
	;; [unrolled: 1-line block ×5, first 2 shown]
	s_waitcnt lgkmcnt(0)
	; wave barrier
	s_waitcnt vmcnt(4) lgkmcnt(0)
	v_mul_f32_e32 v19, v4, v55
	v_mul_f32_e32 v4, v4, v54
	;; [unrolled: 1-line block ×4, first 2 shown]
	s_waitcnt vmcnt(3)
	v_mul_f32_e32 v27, v8, v36
	v_mul_f32_e32 v8, v8, v35
	;; [unrolled: 1-line block ×4, first 2 shown]
	s_waitcnt vmcnt(2)
	v_mul_f32_e32 v59, v12, v43
	v_mul_f32_e32 v1, v12, v42
	v_mul_f32_e32 v12, v45, v14
	v_mul_f32_e32 v2, v44, v14
	v_fma_f32 v14, v3, v54, -v19
	v_fmac_f32_e32 v4, v3, v55
	s_waitcnt vmcnt(1)
	v_mul_f32_e32 v3, v47, v16
	v_mul_f32_e32 v16, v46, v16
	v_fma_f32 v19, v5, v52, -v25
	v_fmac_f32_e32 v6, v5, v53
	v_mul_f32_e32 v5, v49, v18
	v_mul_f32_e32 v18, v48, v18
	s_waitcnt vmcnt(0)
	v_mul_f32_e32 v52, v57, v32
	v_mul_f32_e32 v32, v56, v32
	;; [unrolled: 1-line block ×4, first 2 shown]
	v_fma_f32 v27, v7, v35, -v27
	v_fmac_f32_e32 v8, v7, v36
	v_fma_f32 v7, v9, v40, -v58
	v_fmac_f32_e32 v10, v9, v41
	;; [unrolled: 2-line block ×3, first 2 shown]
	v_fma_f32 v11, v44, v13, -v12
	v_fma_f32 v12, v46, v15, -v3
	v_fmac_f32_e32 v16, v47, v15
	v_fma_f32 v5, v48, v17, -v5
	v_fmac_f32_e32 v18, v49, v17
	v_fmac_f32_e32 v32, v57, v31
	v_add_f32_e32 v15, v14, v33
	v_add_f32_e32 v17, v4, v34
	v_fmac_f32_e32 v2, v45, v13
	v_fma_f32 v13, v50, v29, -v25
	v_fmac_f32_e32 v30, v51, v29
	v_fma_f32 v3, v56, v31, -v52
	v_add_f32_e32 v29, v4, v32
	v_sub_f32_e32 v31, v4, v32
	v_add_f32_e32 v4, v15, v19
	v_add_f32_e32 v15, v17, v6
	v_add_f32_e32 v4, v4, v27
	v_add_f32_e32 v15, v15, v8
	v_add_f32_e32 v4, v4, v7
	v_add_f32_e32 v15, v15, v10
	v_add_f32_e32 v4, v4, v9
	v_add_f32_e32 v15, v15, v1
	v_add_f32_e32 v4, v4, v11
	v_add_f32_e32 v15, v15, v2
	v_add_f32_e32 v4, v4, v12
	v_add_f32_e32 v15, v15, v16
	v_add_f32_e32 v4, v4, v5
	v_add_f32_e32 v15, v15, v18
	v_add_f32_e32 v25, v14, v3
	v_sub_f32_e32 v14, v14, v3
	v_mul_f32_e32 v17, 0xbf0a6770, v31
	v_mul_f32_e32 v36, 0xbf68dda4, v31
	v_add_f32_e32 v4, v4, v13
	v_add_f32_e32 v15, v15, v30
	v_mul_f32_e32 v43, 0xbf7d64f0, v31
	v_mul_f32_e32 v47, 0xbf4178ce, v31
	;; [unrolled: 1-line block ×4, first 2 shown]
	v_add_f32_e32 v3, v4, v3
	v_add_f32_e32 v4, v15, v32
	v_mul_f32_e32 v32, 0xbf68dda4, v14
	v_mul_f32_e32 v45, 0xbf7d64f0, v14
	v_mul_f32_e32 v49, 0xbf4178ce, v14
	v_fma_f32 v51, v25, s6, -v31
	v_mul_f32_e32 v14, 0xbe903f40, v14
	v_fmac_f32_e32 v31, 0xbf75a155, v25
	v_fma_f32 v40, v25, s0, -v17
	v_mov_b32_e32 v41, v35
	v_fmac_f32_e32 v17, 0x3f575c64, v25
	v_fma_f32 v15, v25, s1, -v36
	v_mov_b32_e32 v42, v32
	;; [unrolled: 3-line block ×4, first 2 shown]
	v_fmac_f32_e32 v47, 0xbf27a4f4, v25
	v_mov_b32_e32 v52, v14
	v_add_f32_e32 v25, v31, v33
	v_add_f32_e32 v31, v6, v30
	v_sub_f32_e32 v6, v6, v30
	v_fma_f32 v35, v29, s0, -v35
	v_fmac_f32_e32 v41, 0x3f575c64, v29
	v_fmac_f32_e32 v42, 0x3ed4b147, v29
	v_fma_f32 v32, v29, s1, -v32
	v_fmac_f32_e32 v46, 0xbe11bafb, v29
	v_fma_f32 v45, v29, s4, -v45
	;; [unrolled: 2-line block ×4, first 2 shown]
	v_add_f32_e32 v29, v19, v13
	v_sub_f32_e32 v13, v19, v13
	v_mul_f32_e32 v19, 0xbf68dda4, v6
	v_add_f32_e32 v40, v40, v33
	v_add_f32_e32 v17, v17, v33
	;; [unrolled: 1-line block ×9, first 2 shown]
	v_fma_f32 v30, v29, s1, -v19
	v_mul_f32_e32 v33, 0xbf68dda4, v13
	v_fmac_f32_e32 v19, 0x3ed4b147, v29
	v_add_f32_e32 v35, v35, v34
	v_add_f32_e32 v41, v41, v34
	;; [unrolled: 1-line block ×10, first 2 shown]
	v_mov_b32_e32 v34, v33
	v_add_f32_e32 v17, v19, v17
	v_fma_f32 v19, v31, s1, -v33
	v_mul_f32_e32 v33, 0xbf4178ce, v6
	v_add_f32_e32 v19, v19, v35
	v_fma_f32 v35, v29, s5, -v33
	v_add_f32_e32 v15, v35, v15
	v_mul_f32_e32 v35, 0xbf4178ce, v13
	v_add_f32_e32 v30, v30, v40
	v_mov_b32_e32 v40, v35
	v_fma_f32 v35, v31, s5, -v35
	v_fmac_f32_e32 v33, 0xbf27a4f4, v29
	v_add_f32_e32 v32, v35, v32
	v_mul_f32_e32 v35, 0x3e903f40, v6
	v_fmac_f32_e32 v34, 0x3ed4b147, v31
	v_add_f32_e32 v33, v33, v36
	v_fma_f32 v36, v29, s6, -v35
	v_fmac_f32_e32 v35, 0xbf75a155, v29
	v_add_f32_e32 v34, v34, v41
	v_fmac_f32_e32 v40, 0xbf27a4f4, v31
	v_mul_f32_e32 v41, 0x3e903f40, v13
	v_add_f32_e32 v35, v35, v43
	v_mul_f32_e32 v43, 0x3f7d64f0, v6
	v_add_f32_e32 v40, v40, v42
	v_add_f32_e32 v36, v36, v44
	v_mov_b32_e32 v42, v41
	v_fma_f32 v41, v31, s6, -v41
	v_fma_f32 v44, v29, s4, -v43
	v_fmac_f32_e32 v43, 0xbe11bafb, v29
	v_mul_f32_e32 v6, 0x3f0a6770, v6
	v_add_f32_e32 v41, v41, v45
	v_mul_f32_e32 v45, 0x3f7d64f0, v13
	v_add_f32_e32 v43, v43, v47
	v_fma_f32 v47, v29, s0, -v6
	v_mul_f32_e32 v13, 0x3f0a6770, v13
	v_fmac_f32_e32 v6, 0x3f575c64, v29
	v_add_f32_e32 v44, v44, v48
	v_mov_b32_e32 v48, v13
	v_add_f32_e32 v6, v6, v25
	v_fma_f32 v13, v31, s0, -v13
	v_add_f32_e32 v25, v8, v18
	v_sub_f32_e32 v8, v8, v18
	v_add_f32_e32 v13, v13, v14
	v_add_f32_e32 v14, v27, v5
	v_sub_f32_e32 v5, v27, v5
	v_mul_f32_e32 v18, 0xbf7d64f0, v8
	v_fma_f32 v27, v14, s4, -v18
	v_mul_f32_e32 v29, 0xbf7d64f0, v5
	v_fmac_f32_e32 v18, 0xbe11bafb, v14
	v_add_f32_e32 v17, v18, v17
	v_fma_f32 v18, v25, s4, -v29
	v_add_f32_e32 v18, v18, v19
	v_mul_f32_e32 v19, 0x3e903f40, v8
	v_fmac_f32_e32 v42, 0xbf75a155, v31
	v_add_f32_e32 v27, v27, v30
	v_mov_b32_e32 v30, v29
	v_fma_f32 v29, v14, s6, -v19
	v_add_f32_e32 v42, v42, v46
	v_mov_b32_e32 v46, v45
	v_add_f32_e32 v15, v29, v15
	v_mul_f32_e32 v29, 0x3e903f40, v5
	v_fmac_f32_e32 v46, 0xbe11bafb, v31
	v_fma_f32 v45, v31, s4, -v45
	v_fmac_f32_e32 v48, 0x3f575c64, v31
	v_mov_b32_e32 v31, v29
	v_fma_f32 v29, v25, s6, -v29
	v_fmac_f32_e32 v30, 0xbe11bafb, v25
	v_fmac_f32_e32 v19, 0xbf75a155, v14
	v_add_f32_e32 v29, v29, v32
	v_mul_f32_e32 v32, 0x3f68dda4, v8
	v_add_f32_e32 v30, v30, v34
	v_add_f32_e32 v19, v19, v33
	v_fma_f32 v33, v14, s1, -v32
	v_mul_f32_e32 v34, 0x3f68dda4, v5
	v_fmac_f32_e32 v32, 0x3ed4b147, v14
	v_fmac_f32_e32 v31, 0xbf75a155, v25
	v_add_f32_e32 v33, v33, v36
	v_mov_b32_e32 v36, v34
	v_add_f32_e32 v32, v32, v35
	v_fma_f32 v34, v25, s1, -v34
	v_mul_f32_e32 v35, 0xbf0a6770, v8
	v_add_f32_e32 v31, v31, v40
	v_add_f32_e32 v34, v34, v41
	v_fma_f32 v40, v14, s0, -v35
	v_mul_f32_e32 v41, 0xbf0a6770, v5
	v_mul_f32_e32 v5, 0xbf4178ce, v5
	v_add_f32_e32 v40, v40, v44
	v_fmac_f32_e32 v35, 0x3f575c64, v14
	v_mul_f32_e32 v8, 0xbf4178ce, v8
	v_mov_b32_e32 v44, v5
	v_fma_f32 v5, v25, s5, -v5
	v_add_f32_e32 v35, v35, v43
	v_fma_f32 v43, v14, s5, -v8
	v_fmac_f32_e32 v8, 0xbf27a4f4, v14
	v_add_f32_e32 v5, v5, v13
	v_add_f32_e32 v13, v10, v16
	v_sub_f32_e32 v10, v10, v16
	v_fmac_f32_e32 v36, 0x3ed4b147, v25
	v_add_f32_e32 v6, v8, v6
	v_add_f32_e32 v8, v7, v12
	v_sub_f32_e32 v7, v7, v12
	v_mul_f32_e32 v12, 0xbf4178ce, v10
	v_add_f32_e32 v36, v36, v42
	v_mov_b32_e32 v42, v41
	v_fma_f32 v14, v8, s5, -v12
	v_mul_f32_e32 v16, 0xbf4178ce, v7
	v_fmac_f32_e32 v12, 0xbf27a4f4, v8
	v_fmac_f32_e32 v42, 0x3f575c64, v25
	v_fma_f32 v41, v25, s0, -v41
	v_fmac_f32_e32 v44, 0xbf27a4f4, v25
	v_mov_b32_e32 v25, v16
	v_add_f32_e32 v12, v12, v17
	v_fma_f32 v16, v13, s5, -v16
	v_mul_f32_e32 v17, 0x3f7d64f0, v10
	v_add_f32_e32 v16, v16, v18
	v_fma_f32 v18, v8, s4, -v17
	v_add_f32_e32 v15, v18, v15
	v_mul_f32_e32 v18, 0x3f7d64f0, v7
	v_fmac_f32_e32 v17, 0xbe11bafb, v8
	v_add_f32_e32 v14, v14, v27
	v_fmac_f32_e32 v25, 0xbf27a4f4, v13
	v_mov_b32_e32 v27, v18
	v_add_f32_e32 v17, v17, v19
	v_fma_f32 v18, v13, s4, -v18
	v_mul_f32_e32 v19, 0xbf0a6770, v10
	v_add_f32_e32 v25, v25, v30
	v_fmac_f32_e32 v27, 0xbe11bafb, v13
	v_add_f32_e32 v18, v18, v29
	v_fma_f32 v29, v8, s0, -v19
	v_mul_f32_e32 v30, 0xbf0a6770, v7
	v_fmac_f32_e32 v19, 0x3f575c64, v8
	v_add_f32_e32 v27, v27, v31
	v_mov_b32_e32 v31, v30
	v_add_f32_e32 v19, v19, v32
	v_fma_f32 v30, v13, s0, -v30
	v_mul_f32_e32 v32, 0xbe903f40, v10
	v_add_f32_e32 v45, v45, v49
	v_add_f32_e32 v29, v29, v33
	v_fmac_f32_e32 v31, 0x3f575c64, v13
	v_add_f32_e32 v30, v30, v34
	v_fma_f32 v33, v8, s6, -v32
	v_mul_f32_e32 v34, 0xbe903f40, v7
	v_fmac_f32_e32 v32, 0xbf75a155, v8
	v_mul_f32_e32 v10, 0x3f68dda4, v10
	v_add_f32_e32 v46, v46, v50
	v_add_f32_e32 v47, v47, v51
	;; [unrolled: 1-line block ×4, first 2 shown]
	v_mov_b32_e32 v36, v34
	v_add_f32_e32 v32, v32, v35
	v_fma_f32 v34, v13, s6, -v34
	v_fma_f32 v35, v8, s1, -v10
	v_mul_f32_e32 v7, 0x3f68dda4, v7
	v_fmac_f32_e32 v10, 0x3ed4b147, v8
	v_add_f32_e32 v48, v48, v52
	v_add_f32_e32 v42, v42, v46
	;; [unrolled: 1-line block ×4, first 2 shown]
	v_fmac_f32_e32 v36, 0xbf75a155, v13
	v_add_f32_e32 v34, v34, v41
	v_mov_b32_e32 v40, v7
	v_add_f32_e32 v41, v10, v6
	v_fma_f32 v6, v13, s1, -v7
	v_sub_f32_e32 v45, v9, v11
	v_sub_f32_e32 v46, v1, v2
	v_add_f32_e32 v44, v44, v48
	v_add_f32_e32 v36, v36, v42
	;; [unrolled: 1-line block ×3, first 2 shown]
	v_fmac_f32_e32 v40, 0x3ed4b147, v13
	v_add_f32_e32 v42, v6, v5
	v_add_f32_e32 v43, v9, v11
	v_mul_f32_e32 v6, 0xbe903f40, v45
	v_mul_f32_e32 v13, 0xbf4178ce, v46
	v_add_f32_e32 v40, v40, v44
	v_add_f32_e32 v44, v1, v2
	v_mul_f32_e32 v5, 0xbe903f40, v46
	v_mov_b32_e32 v2, v6
	v_fma_f32 v11, v43, s5, -v13
	v_fmac_f32_e32 v13, 0xbf27a4f4, v43
	v_fma_f32 v1, v43, s6, -v5
	v_fmac_f32_e32 v2, 0xbf75a155, v44
	v_mul_f32_e32 v10, 0x3f0a6770, v45
	v_add_f32_e32 v13, v13, v19
	v_mul_f32_e32 v19, 0xbf7d64f0, v46
	v_add_f32_e32 v1, v1, v14
	v_add_f32_e32 v2, v2, v25
	v_fmac_f32_e32 v5, 0xbf75a155, v43
	v_mul_f32_e32 v9, 0x3f0a6770, v46
	v_mov_b32_e32 v8, v10
	v_fma_f32 v10, v44, s0, -v10
	v_mul_f32_e32 v14, 0xbf4178ce, v45
	v_fma_f32 v25, v43, s4, -v19
	v_add_f32_e32 v5, v5, v12
	v_fma_f32 v6, v44, s6, -v6
	v_fma_f32 v7, v43, s0, -v9
	v_fmac_f32_e32 v8, 0x3f575c64, v44
	v_fmac_f32_e32 v9, 0x3f575c64, v43
	v_add_f32_e32 v10, v10, v18
	v_add_f32_e32 v11, v11, v29
	v_mov_b32_e32 v12, v14
	v_mul_f32_e32 v18, 0x3f68dda4, v45
	v_add_f32_e32 v29, v25, v35
	v_mul_f32_e32 v25, 0xbf7d64f0, v45
	v_add_f32_e32 v6, v6, v16
	v_add_f32_e32 v8, v8, v27
	;; [unrolled: 1-line block ×3, first 2 shown]
	v_fmac_f32_e32 v12, 0xbf27a4f4, v44
	v_mul_f32_e32 v17, 0x3f68dda4, v46
	v_mov_b32_e32 v16, v18
	v_mov_b32_e32 v27, v25
	v_fmac_f32_e32 v19, 0xbe11bafb, v43
	v_add_f32_e32 v7, v7, v15
	v_add_f32_e32 v12, v12, v31
	v_fma_f32 v14, v44, s5, -v14
	v_fma_f32 v15, v43, s1, -v17
	v_fmac_f32_e32 v16, 0x3ed4b147, v44
	v_fmac_f32_e32 v17, 0x3ed4b147, v43
	v_fma_f32 v18, v44, s1, -v18
	v_fmac_f32_e32 v27, 0xbe11bafb, v44
	v_add_f32_e32 v31, v19, v41
	v_fma_f32 v19, v44, s4, -v25
	v_add_f32_e32 v14, v14, v30
	v_add_f32_e32 v15, v15, v33
	;; [unrolled: 1-line block ×7, first 2 shown]
	ds_write2_b64 v37, v[3:4], v[1:2] offset1:48
	ds_write2_b64 v37, v[7:8], v[11:12] offset0:96 offset1:144
	ds_write2_b64 v37, v[15:16], v[29:30] offset0:192 offset1:240
	;; [unrolled: 1-line block ×4, first 2 shown]
	ds_write_b64 v37, v[5:6] offset:3840
	s_waitcnt lgkmcnt(0)
	; wave barrier
	s_waitcnt lgkmcnt(0)
	ds_read_b64 v[2:3], v37
	s_add_u32 s6, s12, 0x1060
	v_lshlrev_b32_e32 v0, 3, v24
	s_addc_u32 s7, s13, 0
	v_sub_u32_e32 v4, 0, v0
	v_cmp_ne_u32_e64 s[0:1], 0, v24
                                        ; implicit-def: $vgpr6
                                        ; implicit-def: $vgpr5
                                        ; implicit-def: $vgpr0_vgpr1
	s_and_saveexec_b64 s[4:5], s[0:1]
	s_xor_b64 s[4:5], exec, s[4:5]
	s_cbranch_execz .LBB0_25
; %bb.24:
	v_mov_b32_e32 v25, 0
	v_lshlrev_b64 v[0:1], 3, v[24:25]
	v_mov_b32_e32 v5, s7
	v_add_co_u32_e64 v0, s[0:1], s6, v0
	v_addc_co_u32_e64 v1, s[0:1], v5, v1, s[0:1]
	global_load_dwordx2 v[0:1], v[0:1], off
	ds_read_b64 v[5:6], v4 offset:4224
	s_waitcnt lgkmcnt(0)
	v_add_f32_e32 v7, v5, v2
	v_add_f32_e32 v8, v6, v3
	v_sub_f32_e32 v2, v2, v5
	v_sub_f32_e32 v3, v3, v6
	v_mul_f32_e32 v6, 0.5, v8
	v_mul_f32_e32 v2, 0.5, v2
	;; [unrolled: 1-line block ×3, first 2 shown]
	s_waitcnt vmcnt(0)
	v_mul_f32_e32 v8, v1, v2
	v_fma_f32 v9, v6, v1, v3
	v_fma_f32 v1, v6, v1, -v3
	v_fma_f32 v5, 0.5, v7, v8
	v_fma_f32 v3, -v0, v2, v9
	v_fma_f32 v7, v7, 0.5, -v8
	v_fma_f32 v1, -v0, v2, v1
	v_fmac_f32_e32 v5, v0, v6
	ds_write_b32 v37, v3 offset:4
	v_fma_f32 v6, -v0, v6, v7
	ds_write_b32 v4, v1 offset:4228
	v_mov_b32_e32 v0, v24
	v_mov_b32_e32 v1, v25
                                        ; implicit-def: $vgpr2_vgpr3
.LBB0_25:
	s_andn2_saveexec_b64 s[0:1], s[4:5]
	s_cbranch_execz .LBB0_27
; %bb.26:
	v_mov_b32_e32 v7, 0
	ds_write_b32 v37, v7 offset:4
	ds_write_b32 v4, v7 offset:4228
	ds_read_b32 v0, v7 offset:2116
	s_waitcnt lgkmcnt(3)
	v_add_f32_e32 v5, v2, v3
	v_sub_f32_e32 v6, v2, v3
	s_waitcnt lgkmcnt(0)
	v_xor_b32_e32 v2, 0x80000000, v0
	v_mov_b32_e32 v0, 0
	v_mov_b32_e32 v1, 0
	ds_write_b32 v7, v2 offset:2116
.LBB0_27:
	s_or_b64 exec, exec, s[0:1]
	v_mov_b32_e32 v27, 0
	s_waitcnt lgkmcnt(0)
	v_lshlrev_b64 v[2:3], 3, v[26:27]
	v_mov_b32_e32 v7, s7
	v_add_co_u32_e64 v2, s[0:1], s6, v2
	v_addc_co_u32_e64 v3, s[0:1], v7, v3, s[0:1]
	global_load_dwordx2 v[2:3], v[2:3], off
	v_mov_b32_e32 v29, v27
	v_lshlrev_b64 v[7:8], 3, v[28:29]
	v_mov_b32_e32 v9, s7
	v_add_co_u32_e64 v7, s[0:1], s6, v7
	v_addc_co_u32_e64 v8, s[0:1], v9, v8, s[0:1]
	global_load_dwordx2 v[7:8], v[7:8], off
	v_lshlrev_b64 v[0:1], 3, v[0:1]
	v_add_co_u32_e64 v0, s[0:1], s6, v0
	v_addc_co_u32_e64 v1, s[0:1], v9, v1, s[0:1]
	global_load_dwordx2 v[9:10], v[0:1], off offset:1152
	ds_write_b32 v37, v5
	ds_write_b32 v4, v6 offset:4224
	ds_read_b64 v[5:6], v39
	ds_read_b64 v[11:12], v4 offset:3840
	global_load_dwordx2 v[13:14], v[0:1], off offset:1536
	v_cmp_gt_u32_e64 s[0:1], 24, v24
	s_waitcnt lgkmcnt(0)
	v_add_f32_e32 v15, v5, v11
	v_sub_f32_e32 v5, v5, v11
	v_add_f32_e32 v16, v6, v12
	v_sub_f32_e32 v6, v6, v12
	v_mul_f32_e32 v12, 0.5, v5
	v_mul_f32_e32 v11, 0.5, v16
	;; [unrolled: 1-line block ×3, first 2 shown]
	s_waitcnt vmcnt(3)
	v_mul_f32_e32 v16, v3, v12
	v_fma_f32 v6, v11, v3, v5
	v_fma_f32 v3, v11, v3, -v5
	v_fma_f32 v5, 0.5, v15, v16
	v_fma_f32 v6, -v2, v12, v6
	v_fma_f32 v15, v15, 0.5, -v16
	v_fmac_f32_e32 v5, v2, v11
	v_fma_f32 v3, -v2, v12, v3
	v_fma_f32 v2, -v2, v11, v15
	ds_write_b64 v39, v[5:6]
	ds_write_b64 v4, v[2:3] offset:3840
	ds_read_b64 v[2:3], v38
	ds_read_b64 v[5:6], v4 offset:3456
	s_waitcnt lgkmcnt(0)
	v_add_f32_e32 v11, v2, v5
	v_sub_f32_e32 v2, v2, v5
	v_add_f32_e32 v12, v3, v6
	v_sub_f32_e32 v3, v3, v6
	v_mul_f32_e32 v6, 0.5, v2
	v_mul_f32_e32 v5, 0.5, v12
	;; [unrolled: 1-line block ×3, first 2 shown]
	s_waitcnt vmcnt(2)
	v_mul_f32_e32 v12, v8, v6
	v_fma_f32 v3, v5, v8, v2
	v_fma_f32 v8, v5, v8, -v2
	v_fma_f32 v2, 0.5, v11, v12
	v_fma_f32 v3, -v7, v6, v3
	v_fma_f32 v11, v11, 0.5, -v12
	v_fmac_f32_e32 v2, v7, v5
	v_fma_f32 v6, -v7, v6, v8
	v_fma_f32 v5, -v7, v5, v11
	ds_write_b64 v38, v[2:3]
	ds_write_b64 v4, v[5:6] offset:3456
	ds_read_b64 v[2:3], v37 offset:1152
	ds_read_b64 v[5:6], v4 offset:3072
	s_waitcnt lgkmcnt(0)
	v_add_f32_e32 v7, v2, v5
	v_sub_f32_e32 v2, v2, v5
	v_add_f32_e32 v8, v3, v6
	v_sub_f32_e32 v3, v3, v6
	v_mul_f32_e32 v6, 0.5, v2
	v_mul_f32_e32 v5, 0.5, v8
	v_mul_f32_e32 v2, 0.5, v3
	s_waitcnt vmcnt(1)
	v_mul_f32_e32 v8, v10, v6
	v_fma_f32 v3, v5, v10, v2
	v_fma_f32 v10, v5, v10, -v2
	v_fma_f32 v2, 0.5, v7, v8
	v_fma_f32 v3, -v9, v6, v3
	v_fma_f32 v7, v7, 0.5, -v8
	v_fmac_f32_e32 v2, v9, v5
	v_fma_f32 v6, -v9, v6, v10
	v_fma_f32 v5, -v9, v5, v7
	ds_write_b64 v37, v[2:3] offset:1152
	ds_write_b64 v4, v[5:6] offset:3072
	ds_read_b64 v[2:3], v37 offset:1536
	ds_read_b64 v[5:6], v4 offset:2688
	s_waitcnt lgkmcnt(0)
	v_add_f32_e32 v7, v2, v5
	v_sub_f32_e32 v2, v2, v5
	v_add_f32_e32 v8, v3, v6
	v_sub_f32_e32 v3, v3, v6
	v_mul_f32_e32 v6, 0.5, v2
	v_mul_f32_e32 v5, 0.5, v8
	;; [unrolled: 1-line block ×3, first 2 shown]
	s_waitcnt vmcnt(0)
	v_mul_f32_e32 v8, v14, v6
	v_fma_f32 v3, v5, v14, v2
	v_fma_f32 v9, v5, v14, -v2
	v_fma_f32 v2, 0.5, v7, v8
	v_fma_f32 v3, -v13, v6, v3
	v_fma_f32 v7, v7, 0.5, -v8
	v_fmac_f32_e32 v2, v13, v5
	v_fma_f32 v6, -v13, v6, v9
	v_fma_f32 v5, -v13, v5, v7
	ds_write_b64 v37, v[2:3] offset:1536
	ds_write_b64 v4, v[5:6] offset:2688
	s_and_saveexec_b64 s[4:5], s[0:1]
	s_cbranch_execz .LBB0_29
; %bb.28:
	global_load_dwordx2 v[0:1], v[0:1], off offset:1920
	ds_read_b64 v[2:3], v37 offset:1920
	ds_read_b64 v[5:6], v4 offset:2304
	s_waitcnt lgkmcnt(0)
	v_add_f32_e32 v7, v2, v5
	v_sub_f32_e32 v2, v2, v5
	v_add_f32_e32 v8, v3, v6
	v_sub_f32_e32 v3, v3, v6
	v_mul_f32_e32 v6, 0.5, v2
	v_mul_f32_e32 v5, 0.5, v8
	;; [unrolled: 1-line block ×3, first 2 shown]
	s_waitcnt vmcnt(0)
	v_mul_f32_e32 v3, v1, v6
	v_fma_f32 v8, v5, v1, v2
	v_fma_f32 v9, v5, v1, -v2
	v_fma_f32 v1, 0.5, v7, v3
	v_fma_f32 v2, -v0, v6, v8
	v_fma_f32 v3, v7, 0.5, -v3
	v_fmac_f32_e32 v1, v0, v5
	v_fma_f32 v6, -v0, v6, v9
	v_fma_f32 v5, -v0, v5, v3
	ds_write_b64 v37, v[1:2] offset:1920
	ds_write_b64 v4, v[5:6] offset:2304
.LBB0_29:
	s_or_b64 exec, exec, s[4:5]
	s_waitcnt lgkmcnt(0)
	; wave barrier
	s_waitcnt lgkmcnt(0)
	s_and_saveexec_b64 s[0:1], vcc
	s_cbranch_execz .LBB0_32
; %bb.30:
	v_mul_lo_u32 v2, s3, v22
	v_mul_lo_u32 v3, s2, v23
	v_mad_u64_u32 v[0:1], s[0:1], s2, v22, 0
	v_mov_b32_e32 v6, s11
	v_lshl_add_u32 v8, v24, 3, 0
	v_add3_u32 v1, v1, v3, v2
	v_lshlrev_b64 v[0:1], 3, v[0:1]
	v_mov_b32_e32 v25, 0
	v_add_co_u32_e32 v0, vcc, s10, v0
	v_addc_co_u32_e32 v9, vcc, v6, v1, vcc
	v_lshlrev_b64 v[6:7], 3, v[20:21]
	ds_read2_b64 v[2:5], v8 offset1:48
	v_add_co_u32_e32 v1, vcc, v0, v6
	v_addc_co_u32_e32 v0, vcc, v9, v7, vcc
	v_lshlrev_b64 v[6:7], 3, v[24:25]
	v_add_u32_e32 v9, 0x800, v8
	v_add_co_u32_e32 v6, vcc, v1, v6
	v_addc_co_u32_e32 v7, vcc, v0, v7, vcc
	s_waitcnt lgkmcnt(0)
	global_store_dwordx2 v[6:7], v[2:3], off
	v_add_u32_e32 v2, 48, v24
	v_mov_b32_e32 v3, v25
	v_lshlrev_b64 v[2:3], 3, v[2:3]
	v_add_u32_e32 v6, 0x60, v24
	v_add_co_u32_e32 v2, vcc, v1, v2
	v_addc_co_u32_e32 v3, vcc, v0, v3, vcc
	global_store_dwordx2 v[2:3], v[4:5], off
	v_mov_b32_e32 v7, v25
	ds_read2_b64 v[2:5], v8 offset0:96 offset1:144
	v_lshlrev_b64 v[6:7], 3, v[6:7]
	v_add_co_u32_e32 v6, vcc, v1, v6
	v_addc_co_u32_e32 v7, vcc, v0, v7, vcc
	s_waitcnt lgkmcnt(0)
	global_store_dwordx2 v[6:7], v[2:3], off
	v_add_u32_e32 v2, 0x90, v24
	v_mov_b32_e32 v3, v25
	v_lshlrev_b64 v[2:3], 3, v[2:3]
	v_add_u32_e32 v6, 0xc0, v24
	v_add_co_u32_e32 v2, vcc, v1, v2
	v_addc_co_u32_e32 v3, vcc, v0, v3, vcc
	global_store_dwordx2 v[2:3], v[4:5], off
	v_mov_b32_e32 v7, v25
	ds_read2_b64 v[2:5], v8 offset0:192 offset1:240
	v_lshlrev_b64 v[6:7], 3, v[6:7]
	v_add_co_u32_e32 v6, vcc, v1, v6
	v_addc_co_u32_e32 v7, vcc, v0, v7, vcc
	s_waitcnt lgkmcnt(0)
	global_store_dwordx2 v[6:7], v[2:3], off
	v_add_u32_e32 v2, 0xf0, v24
	v_mov_b32_e32 v3, v25
	v_lshlrev_b64 v[2:3], 3, v[2:3]
	v_add_u32_e32 v6, 0x120, v24
	v_add_co_u32_e32 v2, vcc, v1, v2
	v_addc_co_u32_e32 v3, vcc, v0, v3, vcc
	global_store_dwordx2 v[2:3], v[4:5], off
	v_mov_b32_e32 v7, v25
	ds_read2_b64 v[2:5], v9 offset0:32 offset1:80
	v_lshlrev_b64 v[6:7], 3, v[6:7]
	v_add_co_u32_e32 v6, vcc, v1, v6
	v_addc_co_u32_e32 v7, vcc, v0, v7, vcc
	s_waitcnt lgkmcnt(0)
	global_store_dwordx2 v[6:7], v[2:3], off
	v_add_u32_e32 v2, 0x150, v24
	v_mov_b32_e32 v3, v25
	v_lshlrev_b64 v[2:3], 3, v[2:3]
	v_add_u32_e32 v6, 0x180, v24
	v_add_co_u32_e32 v2, vcc, v1, v2
	v_addc_co_u32_e32 v3, vcc, v0, v3, vcc
	global_store_dwordx2 v[2:3], v[4:5], off
	v_mov_b32_e32 v7, v25
	ds_read2_b64 v[2:5], v9 offset0:128 offset1:176
	v_lshlrev_b64 v[6:7], 3, v[6:7]
	v_add_co_u32_e32 v6, vcc, v1, v6
	v_addc_co_u32_e32 v7, vcc, v0, v7, vcc
	s_waitcnt lgkmcnt(0)
	global_store_dwordx2 v[6:7], v[2:3], off
	v_add_u32_e32 v2, 0x1b0, v24
	v_mov_b32_e32 v3, v25
	v_lshlrev_b64 v[2:3], 3, v[2:3]
	v_add_co_u32_e32 v2, vcc, v1, v2
	v_addc_co_u32_e32 v3, vcc, v0, v3, vcc
	global_store_dwordx2 v[2:3], v[4:5], off
	v_add_u32_e32 v2, 0x1e0, v24
	v_mov_b32_e32 v3, v25
	ds_read_b64 v[4:5], v8 offset:3840
	v_lshlrev_b64 v[2:3], 3, v[2:3]
	v_add_co_u32_e32 v2, vcc, v1, v2
	v_addc_co_u32_e32 v3, vcc, v0, v3, vcc
	v_cmp_eq_u32_e32 vcc, 47, v24
	s_waitcnt lgkmcnt(0)
	global_store_dwordx2 v[2:3], v[4:5], off
	s_and_b64 exec, exec, vcc
	s_cbranch_execz .LBB0_32
; %bb.31:
	ds_read_b64 v[2:3], v25 offset:4224
	v_add_co_u32_e32 v4, vcc, 0x1000, v1
	v_addc_co_u32_e32 v5, vcc, 0, v0, vcc
	s_waitcnt lgkmcnt(0)
	global_store_dwordx2 v[4:5], v[2:3], off offset:128
.LBB0_32:
	s_endpgm
	.section	.rodata,"a",@progbits
	.p2align	6, 0x0
	.amdhsa_kernel fft_rtc_fwd_len528_factors_4_4_3_11_wgs_48_tpt_48_halfLds_sp_op_CI_CI_unitstride_sbrr_R2C_dirReg
		.amdhsa_group_segment_fixed_size 0
		.amdhsa_private_segment_fixed_size 0
		.amdhsa_kernarg_size 104
		.amdhsa_user_sgpr_count 6
		.amdhsa_user_sgpr_private_segment_buffer 1
		.amdhsa_user_sgpr_dispatch_ptr 0
		.amdhsa_user_sgpr_queue_ptr 0
		.amdhsa_user_sgpr_kernarg_segment_ptr 1
		.amdhsa_user_sgpr_dispatch_id 0
		.amdhsa_user_sgpr_flat_scratch_init 0
		.amdhsa_user_sgpr_private_segment_size 0
		.amdhsa_uses_dynamic_stack 0
		.amdhsa_system_sgpr_private_segment_wavefront_offset 0
		.amdhsa_system_sgpr_workgroup_id_x 1
		.amdhsa_system_sgpr_workgroup_id_y 0
		.amdhsa_system_sgpr_workgroup_id_z 0
		.amdhsa_system_sgpr_workgroup_info 0
		.amdhsa_system_vgpr_workitem_id 0
		.amdhsa_next_free_vgpr 60
		.amdhsa_next_free_sgpr 28
		.amdhsa_reserve_vcc 1
		.amdhsa_reserve_flat_scratch 0
		.amdhsa_float_round_mode_32 0
		.amdhsa_float_round_mode_16_64 0
		.amdhsa_float_denorm_mode_32 3
		.amdhsa_float_denorm_mode_16_64 3
		.amdhsa_dx10_clamp 1
		.amdhsa_ieee_mode 1
		.amdhsa_fp16_overflow 0
		.amdhsa_exception_fp_ieee_invalid_op 0
		.amdhsa_exception_fp_denorm_src 0
		.amdhsa_exception_fp_ieee_div_zero 0
		.amdhsa_exception_fp_ieee_overflow 0
		.amdhsa_exception_fp_ieee_underflow 0
		.amdhsa_exception_fp_ieee_inexact 0
		.amdhsa_exception_int_div_zero 0
	.end_amdhsa_kernel
	.text
.Lfunc_end0:
	.size	fft_rtc_fwd_len528_factors_4_4_3_11_wgs_48_tpt_48_halfLds_sp_op_CI_CI_unitstride_sbrr_R2C_dirReg, .Lfunc_end0-fft_rtc_fwd_len528_factors_4_4_3_11_wgs_48_tpt_48_halfLds_sp_op_CI_CI_unitstride_sbrr_R2C_dirReg
                                        ; -- End function
	.section	.AMDGPU.csdata,"",@progbits
; Kernel info:
; codeLenInByte = 7616
; NumSgprs: 32
; NumVgprs: 60
; ScratchSize: 0
; MemoryBound: 0
; FloatMode: 240
; IeeeMode: 1
; LDSByteSize: 0 bytes/workgroup (compile time only)
; SGPRBlocks: 3
; VGPRBlocks: 14
; NumSGPRsForWavesPerEU: 32
; NumVGPRsForWavesPerEU: 60
; Occupancy: 4
; WaveLimiterHint : 1
; COMPUTE_PGM_RSRC2:SCRATCH_EN: 0
; COMPUTE_PGM_RSRC2:USER_SGPR: 6
; COMPUTE_PGM_RSRC2:TRAP_HANDLER: 0
; COMPUTE_PGM_RSRC2:TGID_X_EN: 1
; COMPUTE_PGM_RSRC2:TGID_Y_EN: 0
; COMPUTE_PGM_RSRC2:TGID_Z_EN: 0
; COMPUTE_PGM_RSRC2:TIDIG_COMP_CNT: 0
	.type	__hip_cuid_6384f2b0961d44b4,@object ; @__hip_cuid_6384f2b0961d44b4
	.section	.bss,"aw",@nobits
	.globl	__hip_cuid_6384f2b0961d44b4
__hip_cuid_6384f2b0961d44b4:
	.byte	0                               ; 0x0
	.size	__hip_cuid_6384f2b0961d44b4, 1

	.ident	"AMD clang version 19.0.0git (https://github.com/RadeonOpenCompute/llvm-project roc-6.4.0 25133 c7fe45cf4b819c5991fe208aaa96edf142730f1d)"
	.section	".note.GNU-stack","",@progbits
	.addrsig
	.addrsig_sym __hip_cuid_6384f2b0961d44b4
	.amdgpu_metadata
---
amdhsa.kernels:
  - .args:
      - .actual_access:  read_only
        .address_space:  global
        .offset:         0
        .size:           8
        .value_kind:     global_buffer
      - .offset:         8
        .size:           8
        .value_kind:     by_value
      - .actual_access:  read_only
        .address_space:  global
        .offset:         16
        .size:           8
        .value_kind:     global_buffer
      - .actual_access:  read_only
        .address_space:  global
        .offset:         24
        .size:           8
        .value_kind:     global_buffer
      - .actual_access:  read_only
        .address_space:  global
        .offset:         32
        .size:           8
        .value_kind:     global_buffer
      - .offset:         40
        .size:           8
        .value_kind:     by_value
      - .actual_access:  read_only
        .address_space:  global
        .offset:         48
        .size:           8
        .value_kind:     global_buffer
      - .actual_access:  read_only
        .address_space:  global
        .offset:         56
        .size:           8
        .value_kind:     global_buffer
      - .offset:         64
        .size:           4
        .value_kind:     by_value
      - .actual_access:  read_only
        .address_space:  global
        .offset:         72
        .size:           8
        .value_kind:     global_buffer
      - .actual_access:  read_only
        .address_space:  global
        .offset:         80
        .size:           8
        .value_kind:     global_buffer
      - .actual_access:  read_only
        .address_space:  global
        .offset:         88
        .size:           8
        .value_kind:     global_buffer
      - .actual_access:  write_only
        .address_space:  global
        .offset:         96
        .size:           8
        .value_kind:     global_buffer
    .group_segment_fixed_size: 0
    .kernarg_segment_align: 8
    .kernarg_segment_size: 104
    .language:       OpenCL C
    .language_version:
      - 2
      - 0
    .max_flat_workgroup_size: 48
    .name:           fft_rtc_fwd_len528_factors_4_4_3_11_wgs_48_tpt_48_halfLds_sp_op_CI_CI_unitstride_sbrr_R2C_dirReg
    .private_segment_fixed_size: 0
    .sgpr_count:     32
    .sgpr_spill_count: 0
    .symbol:         fft_rtc_fwd_len528_factors_4_4_3_11_wgs_48_tpt_48_halfLds_sp_op_CI_CI_unitstride_sbrr_R2C_dirReg.kd
    .uniform_work_group_size: 1
    .uses_dynamic_stack: false
    .vgpr_count:     60
    .vgpr_spill_count: 0
    .wavefront_size: 64
amdhsa.target:   amdgcn-amd-amdhsa--gfx906
amdhsa.version:
  - 1
  - 2
...

	.end_amdgpu_metadata
